;; amdgpu-corpus repo=ROCm/rocFFT kind=compiled arch=gfx906 opt=O3
	.text
	.amdgcn_target "amdgcn-amd-amdhsa--gfx906"
	.amdhsa_code_object_version 6
	.protected	fft_rtc_fwd_len192_factors_6_4_4_2_wgs_256_tpt_32_half_op_CI_CI_sbrc_xy_z_unaligned ; -- Begin function fft_rtc_fwd_len192_factors_6_4_4_2_wgs_256_tpt_32_half_op_CI_CI_sbrc_xy_z_unaligned
	.globl	fft_rtc_fwd_len192_factors_6_4_4_2_wgs_256_tpt_32_half_op_CI_CI_sbrc_xy_z_unaligned
	.p2align	8
	.type	fft_rtc_fwd_len192_factors_6_4_4_2_wgs_256_tpt_32_half_op_CI_CI_sbrc_xy_z_unaligned,@function
fft_rtc_fwd_len192_factors_6_4_4_2_wgs_256_tpt_32_half_op_CI_CI_sbrc_xy_z_unaligned: ; @fft_rtc_fwd_len192_factors_6_4_4_2_wgs_256_tpt_32_half_op_CI_CI_sbrc_xy_z_unaligned
; %bb.0:
	s_load_dwordx4 s[8:11], s[4:5], 0x10
	s_load_dwordx2 s[18:19], s[4:5], 0x20
	s_mov_b32 s7, 0
	s_mov_b32 s17, s7
	s_waitcnt lgkmcnt(0)
	s_load_dwordx4 s[0:3], s[8:9], 0x8
	s_load_dwordx4 s[12:15], s[10:11], 0x0
	s_load_dwordx2 s[22:23], s[10:11], 0x10
	s_waitcnt lgkmcnt(0)
	s_add_i32 s3, s2, -1
	s_lshr_b32 s3, s3, 3
	s_add_i32 s3, s3, 1
	s_mul_i32 s8, s3, s0
	v_cvt_f32_u32_e32 v1, s8
	s_sub_i32 s3, 0, s8
	v_rcp_iflag_f32_e32 v1, v1
	v_mul_f32_e32 v1, 0x4f7ffffe, v1
	v_cvt_u32_f32_e32 v3, v1
	v_mov_b32_e32 v2, s1
	v_mov_b32_e32 v1, s0
	v_readfirstlane_b32 s9, v3
	s_mul_i32 s3, s3, s9
	s_mul_hi_u32 s3, s9, s3
	s_add_i32 s9, s9, s3
	s_mul_hi_u32 s3, s6, s9
	s_mul_i32 s9, s3, s8
	s_sub_i32 s9, s6, s9
	s_add_i32 s15, s3, 1
	s_sub_i32 s16, s9, s8
	s_cmp_ge_u32 s9, s8
	s_cselect_b32 s3, s15, s3
	s_cselect_b32 s9, s16, s9
	s_add_i32 s15, s3, 1
	s_cmp_ge_u32 s9, s8
	s_cselect_b32 s3, s15, s3
	s_mul_i32 s8, s3, s8
	s_sub_i32 s16, s6, s8
	v_cmp_lt_u64_e32 vcc, s[16:17], v[1:2]
	v_cvt_f32_u32_e32 v1, s0
	s_mov_b64 s[8:9], 0
	s_cbranch_vccnz .LBB0_2
; %bb.1:
	v_rcp_iflag_f32_e32 v2, v1
	s_sub_i32 s8, 0, s0
	v_mul_f32_e32 v2, 0x4f7ffffe, v2
	v_cvt_u32_f32_e32 v2, v2
	v_readfirstlane_b32 s9, v2
	s_mul_i32 s8, s8, s9
	s_mul_hi_u32 s8, s9, s8
	s_add_i32 s9, s9, s8
	s_mul_hi_u32 s8, s16, s9
	s_mul_i32 s15, s8, s0
	s_sub_i32 s15, s16, s15
	s_add_i32 s9, s8, 1
	s_sub_i32 s16, s15, s0
	s_cmp_ge_u32 s15, s0
	s_cselect_b32 s8, s9, s8
	s_cselect_b32 s15, s16, s15
	s_add_i32 s9, s8, 1
	s_cmp_ge_u32 s15, s0
	s_cselect_b32 s8, s9, s8
.LBB0_2:
	s_load_dwordx2 s[24:25], s[4:5], 0x58
	v_mov_b32_e32 v3, s1
	v_mov_b32_e32 v2, s0
	v_cmp_lt_u64_e32 vcc, s[6:7], v[2:3]
	s_cbranch_vccnz .LBB0_4
; %bb.3:
	v_rcp_iflag_f32_e32 v1, v1
	s_sub_i32 s1, 0, s0
	v_mul_f32_e32 v1, 0x4f7ffffe, v1
	v_cvt_u32_f32_e32 v1, v1
	v_readfirstlane_b32 s7, v1
	s_mul_i32 s1, s1, s7
	s_mul_hi_u32 s1, s7, s1
	s_add_i32 s7, s7, s1
	s_mul_hi_u32 s1, s6, s7
	s_mul_i32 s1, s1, s0
	s_sub_i32 s1, s6, s1
	s_sub_i32 s6, s1, s0
	s_cmp_ge_u32 s1, s0
	s_cselect_b32 s1, s6, s1
	s_sub_i32 s6, s1, s0
	s_cmp_ge_u32 s1, s0
	s_cselect_b32 s6, s6, s1
.LBB0_4:
	s_load_dwordx2 s[0:1], s[4:5], 0x8
	s_lshl_b32 s7, s8, 3
	s_mul_i32 s9, s6, s14
	s_mul_i32 s8, s7, s22
	s_add_i32 s23, s9, s8
	s_waitcnt lgkmcnt(0)
	s_lshl_b64 s[14:15], s[0:1], 3
	s_add_u32 s0, s10, s14
	s_addc_u32 s1, s11, s15
	s_load_dwordx2 s[20:21], s[0:1], 0x0
	s_load_dwordx4 s[8:11], s[18:19], 0x0
	s_load_dwordx2 s[16:17], s[18:19], 0x10
	s_mov_b64 s[26:27], -1
	v_lshl_add_u32 v3, v0, 2, 0
	s_waitcnt lgkmcnt(0)
	s_mul_i32 s0, s21, s3
	s_mul_hi_u32 s1, s20, s3
	s_mul_i32 s11, s20, s3
	s_add_i32 s1, s1, s0
	s_add_u32 s0, s11, s23
	s_addc_u32 s1, s1, 0
	s_add_u32 s14, s18, s14
	s_addc_u32 s15, s19, s15
	s_load_dwordx2 s[14:15], s[14:15], 0x0
	s_add_i32 s11, s7, 8
	s_cmp_le_u32 s11, s2
	s_cselect_b64 s[18:19], -1, 0
	s_and_b64 vcc, exec, s[18:19]
	s_cbranch_vccnz .LBB0_8
; %bb.5:
	s_lshl_b64 s[20:21], s[0:1], 2
	s_add_u32 s11, s24, s20
	s_addc_u32 s23, s25, s21
	s_mov_b64 s[20:21], 0
	s_mov_b32 s17, 0xaaab
	v_mov_b32_e32 v2, 0
	v_mov_b32_e32 v4, s23
	s_movk_i32 s23, 0x5ff
	v_mov_b32_e32 v5, v0
	v_mov_b32_e32 v6, v3
.LBB0_6:                                ; =>This Inner Loop Header: Depth=1
	v_mul_u32_u24_sdwa v1, v5, s17 dst_sel:DWORD dst_unused:UNUSED_PAD src0_sel:WORD_0 src1_sel:DWORD
	v_lshrrev_b32_e32 v1, 23, v1
	v_mul_lo_u16_e32 v7, 0xc0, v1
	v_sub_u16_e32 v11, v5, v7
	v_mul_lo_u32 v1, s22, v1
	v_mad_u64_u32 v[7:8], s[26:27], s12, v11, 0
	v_add_u32_e32 v5, 0x100, v5
	v_lshlrev_b64 v[9:10], 2, v[1:2]
	v_mov_b32_e32 v1, v8
	v_mad_u64_u32 v[11:12], s[26:27], s13, v11, v[1:2]
	v_mov_b32_e32 v8, v11
	v_lshlrev_b64 v[7:8], 2, v[7:8]
	v_add_co_u32_e32 v1, vcc, s11, v7
	v_addc_co_u32_e32 v8, vcc, v4, v8, vcc
	v_add_co_u32_e32 v7, vcc, v1, v9
	v_addc_co_u32_e32 v8, vcc, v8, v10, vcc
	global_load_dword v1, v[7:8], off
	v_cmp_lt_u32_e32 vcc, s23, v5
	s_or_b64 s[20:21], vcc, s[20:21]
	s_waitcnt vmcnt(0)
	ds_write_b32 v6, v1
	v_add_u32_e32 v6, 0x400, v6
	s_andn2_b64 exec, exec, s[20:21]
	s_cbranch_execnz .LBB0_6
; %bb.7:
	s_or_b64 exec, exec, s[20:21]
	s_mov_b64 s[26:27], 0
.LBB0_8:
	s_load_dwordx2 s[20:21], s[4:5], 0x0
	s_and_b64 vcc, exec, s[26:27]
	s_cbranch_vccz .LBB0_10
; %bb.9:
	v_mul_u32_u24_e32 v1, 0x156, v0
	v_lshrrev_b32_e32 v4, 16, v1
	v_mul_lo_u16_e32 v1, 0xc0, v4
	v_sub_u16_e32 v6, v0, v1
	v_mad_u64_u32 v[1:2], s[26:27], s12, v6, 0
	s_lshl_b64 s[0:1], s[0:1], 2
	s_add_u32 s11, s24, s0
	v_mad_u64_u32 v[6:7], s[26:27], s13, v6, v[2:3]
	v_mul_lo_u32 v4, s22, v4
	s_addc_u32 s17, s25, s1
	v_mov_b32_e32 v2, v6
	v_or_b32_e32 v6, 0x100, v0
	v_mul_u32_u24_e32 v7, 0x156, v6
	v_lshrrev_b32_e32 v9, 16, v7
	v_mul_lo_u16_e32 v7, 0xc0, v9
	v_sub_u16_e32 v10, v6, v7
	v_mad_u64_u32 v[6:7], s[0:1], s12, v10, 0
	v_lshlrev_b64 v[1:2], 2, v[1:2]
	v_mov_b32_e32 v5, 0
	v_mov_b32_e32 v8, s17
	v_add_co_u32_e32 v11, vcc, s11, v1
	v_addc_co_u32_e32 v12, vcc, v8, v2, vcc
	v_lshlrev_b64 v[1:2], 2, v[4:5]
	v_mov_b32_e32 v4, v7
	v_mad_u64_u32 v[7:8], s[0:1], s13, v10, v[4:5]
	v_or_b32_e32 v8, 0x200, v0
	v_mul_lo_u32 v4, s22, v9
	v_mul_u32_u24_e32 v9, 0x2ab, v8
	v_add_co_u32_e32 v1, vcc, v11, v1
	v_lshrrev_b32_e32 v11, 17, v9
	v_mul_lo_u16_e32 v9, 0xc0, v11
	v_addc_co_u32_e32 v2, vcc, v12, v2, vcc
	v_sub_u16_e32 v12, v8, v9
	v_mad_u64_u32 v[8:9], s[0:1], s12, v12, 0
	v_lshlrev_b64 v[6:7], 2, v[6:7]
	v_mov_b32_e32 v10, s17
	v_add_co_u32_e32 v13, vcc, s11, v6
	v_addc_co_u32_e32 v14, vcc, v10, v7, vcc
	v_lshlrev_b64 v[6:7], 2, v[4:5]
	v_mov_b32_e32 v4, v9
	v_mad_u64_u32 v[9:10], s[0:1], s13, v12, v[4:5]
	v_or_b32_e32 v10, 0x300, v0
	v_mul_lo_u32 v4, s22, v11
	v_mul_u32_u24_e32 v11, 0x2ab, v10
	v_add_co_u32_e32 v6, vcc, v13, v6
	v_lshrrev_b32_e32 v13, 17, v11
	v_mul_lo_u16_e32 v11, 0xc0, v13
	v_addc_co_u32_e32 v7, vcc, v14, v7, vcc
	v_sub_u16_e32 v14, v10, v11
	v_mad_u64_u32 v[10:11], s[0:1], s12, v14, 0
	v_lshlrev_b64 v[8:9], 2, v[8:9]
	;; [unrolled: 16-line block ×4, first 2 shown]
	v_mov_b32_e32 v16, s17
	v_add_co_u32_e32 v19, vcc, s11, v12
	v_addc_co_u32_e32 v20, vcc, v16, v13, vcc
	v_lshlrev_b64 v[12:13], 2, v[4:5]
	v_mov_b32_e32 v4, v15
	v_mad_u64_u32 v[15:16], s[0:1], s13, v18, v[4:5]
	v_mul_lo_u32 v4, s22, v17
	v_add_co_u32_e32 v12, vcc, v19, v12
	v_lshlrev_b64 v[14:15], 2, v[14:15]
	v_addc_co_u32_e32 v13, vcc, v20, v13, vcc
	v_mov_b32_e32 v16, s17
	v_add_co_u32_e32 v14, vcc, s11, v14
	v_lshlrev_b64 v[4:5], 2, v[4:5]
	v_addc_co_u32_e32 v15, vcc, v16, v15, vcc
	v_add_co_u32_e32 v4, vcc, v14, v4
	v_addc_co_u32_e32 v5, vcc, v15, v5, vcc
	global_load_dword v14, v[1:2], off
	global_load_dword v15, v[6:7], off
	;; [unrolled: 1-line block ×6, first 2 shown]
	s_waitcnt vmcnt(4)
	ds_write2st64_b32 v3, v14, v15 offset1:4
	s_waitcnt vmcnt(2)
	ds_write2st64_b32 v3, v16, v17 offset0:8 offset1:12
	s_waitcnt vmcnt(0)
	ds_write2st64_b32 v3, v18, v19 offset0:16 offset1:20
.LBB0_10:
	v_lshrrev_b32_e32 v1, 5, v0
	v_and_b32_e32 v13, 31, v0
	v_mul_u32_u24_e32 v8, 0xc0, v1
	v_lshlrev_b32_e32 v11, 2, v13
	v_lshlrev_b32_e32 v12, 2, v8
	v_add_u32_e32 v10, 0, v11
	v_add_u32_e32 v7, v10, v12
	s_waitcnt lgkmcnt(0)
	s_barrier
	v_add3_u32 v9, 0, v12, v11
	ds_read2_b32 v[1:2], v7 offset0:32 offset1:64
	ds_read_b32 v5, v9
	ds_read2_b32 v[3:4], v7 offset0:96 offset1:128
	ds_read_b32 v6, v7 offset:640
	s_movk_i32 s0, 0x3aee
	s_mov_b32 s1, 0xffff
	s_waitcnt lgkmcnt(2)
	v_pk_add_f16 v15, v5, v2
	s_waitcnt lgkmcnt(1)
	v_pk_add_f16 v17, v2, v4
	v_pk_add_f16 v2, v2, v4 neg_lo:[0,1] neg_hi:[0,1]
	v_pk_fma_f16 v5, v17, 0.5, v5 op_sel_hi:[1,0,1] neg_lo:[1,0,0] neg_hi:[1,0,0]
	v_pk_mul_f16 v2, v2, s0 op_sel_hi:[1,0]
	v_pk_add_f16 v15, v15, v4
	v_pk_add_f16 v4, v5, v2 op_sel:[0,1] op_sel_hi:[1,0]
	v_pk_add_f16 v2, v5, v2 op_sel:[0,1] op_sel_hi:[1,0] neg_lo:[0,1] neg_hi:[0,1]
	s_waitcnt lgkmcnt(0)
	v_pk_add_f16 v5, v3, v6
	v_pk_add_f16 v16, v1, v3
	v_pk_fma_f16 v1, v5, 0.5, v1 op_sel_hi:[1,0,1] neg_lo:[1,0,0] neg_hi:[1,0,0]
	v_pk_add_f16 v3, v3, v6 neg_lo:[0,1] neg_hi:[0,1]
	v_pk_add_f16 v16, v16, v6
	v_pk_fma_f16 v6, v3, s0, v1 op_sel:[0,0,1] op_sel_hi:[1,0,0]
	v_pk_fma_f16 v1, v3, s0, v1 op_sel:[0,0,1] op_sel_hi:[1,0,0] neg_lo:[1,0,0] neg_hi:[1,0,0]
	v_lshrrev_b32_e32 v17, 16, v6
	v_bfi_b32 v3, s1, v6, v1
	v_mul_f16_e32 v6, 0x3aee, v1
	v_fma_f16 v6, v17, 0.5, v6
	v_mul_f16_e32 v17, 0xbaee, v17
	v_fma_f16 v20, v1, 0.5, v17
	s_mov_b32 s0, 0xbaee3aee
	v_pk_mul_f16 v1, v3, 0.5 op_sel_hi:[1,0]
	v_bfi_b32 v5, s1, v2, v4
	v_pk_fma_f16 v3, v3, s0, v1 op_sel:[0,0,1] op_sel_hi:[1,1,0] neg_lo:[0,0,1] neg_hi:[0,0,1]
	v_add_f16_e32 v19, v4, v6
	v_add_f16_sdwa v1, v2, v20 dst_sel:DWORD dst_unused:UNUSED_PAD src0_sel:WORD_1 src1_sel:DWORD
	v_pk_add_f16 v5, v5, v3
	v_sub_f16_sdwa v17, v4, v3 dst_sel:DWORD dst_unused:UNUSED_PAD src0_sel:WORD_1 src1_sel:WORD_1
	v_pack_b32_f16 v3, v20, v3
	v_pk_add_f16 v18, v15, v16
	v_pack_b32_f16 v19, v19, v1
	v_sub_f16_e32 v1, v4, v6
	v_pk_add_f16 v4, v15, v16 neg_lo:[0,1] neg_hi:[0,1]
	v_pk_add_f16 v16, v2, v3 op_sel:[1,0] op_sel_hi:[0,1] neg_lo:[0,1] neg_hi:[0,1]
	v_mad_u32_u24 v14, v13, 20, v7
	v_alignbit_b32 v2, v17, v16, 16
	v_pack_b32_f16 v3, v1, v16
	s_barrier
	ds_write2_b32 v14, v18, v19 offset1:1
	ds_write2_b32 v14, v5, v4 offset0:2 offset1:3
	ds_write2_b32 v14, v3, v2 offset0:4 offset1:5
	s_waitcnt lgkmcnt(0)
	s_barrier
	ds_read2_b32 v[5:6], v7 offset0:48 offset1:96
	ds_read_b32 v18, v9
	ds_read_b32 v19, v7 offset:576
	v_lshrrev_b32_e32 v2, 16, v16
	v_cmp_gt_u32_e32 vcc, 16, v13
                                        ; implicit-def: $vgpr21
                                        ; implicit-def: $vgpr4
                                        ; implicit-def: $vgpr22
	s_and_saveexec_b64 s[0:1], vcc
	s_cbranch_execz .LBB0_12
; %bb.11:
	ds_read2_b32 v[1:2], v7 offset0:32 offset1:80
	ds_read2_b32 v[3:4], v7 offset0:128 offset1:176
	s_waitcnt lgkmcnt(1)
	v_lshrrev_b32_e32 v16, 16, v1
	v_lshrrev_b32_e32 v17, 16, v2
	s_waitcnt lgkmcnt(0)
	v_lshrrev_b32_e32 v22, 16, v3
	v_lshrrev_b32_e32 v21, 16, v4
.LBB0_12:
	s_or_b64 exec, exec, s[0:1]
	v_mul_lo_u16_e32 v31, 43, v13
	v_mov_b32_e32 v23, 6
	v_mul_lo_u16_sdwa v14, v31, v23 dst_sel:DWORD dst_unused:UNUSED_PAD src0_sel:BYTE_1 src1_sel:DWORD
	v_sub_u16_e32 v32, v13, v14
	v_mul_lo_u16_e32 v14, 3, v32
	v_mov_b32_e32 v20, 2
	v_lshlrev_b32_sdwa v14, v20, v14 dst_sel:DWORD dst_unused:UNUSED_PAD src0_sel:DWORD src1_sel:BYTE_0
	global_load_dwordx3 v[25:27], v14, s[20:21]
	v_or_b32_e32 v14, 32, v13
	v_mul_lo_u16_e32 v15, 43, v14
	v_mul_lo_u16_sdwa v23, v15, v23 dst_sel:DWORD dst_unused:UNUSED_PAD src0_sel:BYTE_1 src1_sel:DWORD
	v_sub_u16_e32 v23, v14, v23
	v_mul_lo_u16_e32 v24, 3, v23
	v_lshlrev_b32_sdwa v24, v20, v24 dst_sel:DWORD dst_unused:UNUSED_PAD src0_sel:DWORD src1_sel:BYTE_0
	global_load_dwordx3 v[28:30], v24, s[20:21]
	v_mov_b32_e32 v24, 24
	s_waitcnt lgkmcnt(2)
	v_lshrrev_b32_e32 v33, 16, v5
	v_lshrrev_b32_e32 v34, 16, v6
	v_mul_lo_u16_sdwa v31, v31, v24 dst_sel:DWORD dst_unused:UNUSED_PAD src0_sel:BYTE_1 src1_sel:DWORD
	v_or_b32_e32 v31, v31, v32
	s_waitcnt lgkmcnt(0)
	v_lshrrev_b32_e32 v35, 16, v19
	v_lshlrev_b32_sdwa v31, v20, v31 dst_sel:DWORD dst_unused:UNUSED_PAD src0_sel:DWORD src1_sel:BYTE_0
	v_add3_u32 v31, 0, v31, v12
	s_waitcnt vmcnt(0)
	s_barrier
	v_mul_f16_sdwa v32, v25, v33 dst_sel:DWORD dst_unused:UNUSED_PAD src0_sel:WORD_1 src1_sel:DWORD
	v_mul_f16_sdwa v36, v26, v34 dst_sel:DWORD dst_unused:UNUSED_PAD src0_sel:WORD_1 src1_sel:DWORD
	;; [unrolled: 1-line block ×3, first 2 shown]
	v_fma_f16 v5, v25, v5, -v32
	v_fma_f16 v32, v26, v6, -v36
	v_mul_f16_sdwa v6, v26, v6 dst_sel:DWORD dst_unused:UNUSED_PAD src0_sel:WORD_1 src1_sel:DWORD
	v_fma_f16 v25, v25, v33, v37
	v_mul_f16_sdwa v33, v27, v35 dst_sel:DWORD dst_unused:UNUSED_PAD src0_sel:WORD_1 src1_sel:DWORD
	v_fma_f16 v6, v26, v34, v6
	v_mul_f16_sdwa v26, v27, v19 dst_sel:DWORD dst_unused:UNUSED_PAD src0_sel:WORD_1 src1_sel:DWORD
	v_fma_f16 v19, v27, v19, -v33
	v_fma_f16 v26, v27, v35, v26
	v_mul_f16_sdwa v27, v22, v29 dst_sel:DWORD dst_unused:UNUSED_PAD src0_sel:DWORD src1_sel:WORD_1
	v_lshrrev_b32_e32 v36, 16, v18
	v_mul_f16_sdwa v33, v21, v30 dst_sel:DWORD dst_unused:UNUSED_PAD src0_sel:DWORD src1_sel:WORD_1
	v_mul_f16_sdwa v34, v3, v29 dst_sel:DWORD dst_unused:UNUSED_PAD src0_sel:DWORD src1_sel:WORD_1
	;; [unrolled: 1-line block ×4, first 2 shown]
	v_fma_f16 v3, v3, v29, -v27
	v_mul_f16_sdwa v27, v17, v28 dst_sel:DWORD dst_unused:UNUSED_PAD src0_sel:DWORD src1_sel:WORD_1
	v_fma_f16 v4, v4, v30, -v33
	v_fma_f16 v22, v22, v29, v34
	v_fma_f16 v21, v21, v30, v35
	;; [unrolled: 1-line block ×3, first 2 shown]
	v_fma_f16 v2, v2, v28, -v27
	v_sub_f16_e32 v27, v18, v32
	v_sub_f16_e32 v6, v36, v6
	v_sub_f16_e32 v19, v5, v19
	v_sub_f16_e32 v26, v25, v26
	v_sub_f16_e32 v28, v1, v3
	v_fma_f16 v18, v18, 2.0, -v27
	v_fma_f16 v29, v36, 2.0, -v6
	;; [unrolled: 1-line block ×4, first 2 shown]
	v_sub_f16_e32 v25, v27, v26
	v_add_f16_e32 v19, v6, v19
	v_sub_f16_e32 v26, v2, v4
	v_sub_f16_e32 v4, v17, v21
	v_sub_f16_e32 v21, v16, v22
	v_fma_f16 v1, v1, 2.0, -v28
	v_fma_f16 v22, v27, 2.0, -v25
	;; [unrolled: 1-line block ×3, first 2 shown]
	v_pack_b32_f16 v25, v25, v19
	v_fma_f16 v2, v2, 2.0, -v26
	v_fma_f16 v19, v17, 2.0, -v4
	v_sub_f16_e32 v27, v18, v3
	v_sub_f16_e32 v5, v29, v5
	v_fma_f16 v16, v16, 2.0, -v21
	v_sub_f16_e32 v4, v28, v4
	v_add_f16_e32 v17, v21, v26
	v_sub_f16_e32 v3, v1, v2
	v_pack_b32_f16 v6, v22, v6
	v_fma_f16 v22, v18, 2.0, -v27
	v_fma_f16 v26, v29, 2.0, -v5
	v_sub_f16_e32 v18, v16, v19
	v_fma_f16 v2, v28, 2.0, -v4
	v_fma_f16 v19, v21, 2.0, -v17
	;; [unrolled: 1-line block ×3, first 2 shown]
	v_pack_b32_f16 v21, v22, v26
	v_fma_f16 v16, v16, 2.0, -v18
	v_pack_b32_f16 v5, v27, v5
	ds_write2_b32 v31, v21, v6 offset1:6
	ds_write2_b32 v31, v5, v25 offset0:12 offset1:18
	s_and_saveexec_b64 s[0:1], vcc
	s_cbranch_execz .LBB0_14
; %bb.13:
	v_mul_lo_u16_sdwa v5, v15, v24 dst_sel:DWORD dst_unused:UNUSED_PAD src0_sel:BYTE_1 src1_sel:DWORD
	v_or_b32_e32 v5, v5, v23
	v_lshlrev_b32_sdwa v5, v20, v5 dst_sel:DWORD dst_unused:UNUSED_PAD src0_sel:DWORD src1_sel:BYTE_0
	s_mov_b32 s11, 0x5040100
	v_add3_u32 v5, 0, v5, v12
	v_perm_b32 v6, v16, v1, s11
	v_perm_b32 v20, v19, v2, s11
	ds_write2_b32 v5, v6, v20 offset1:6
	v_perm_b32 v6, v18, v3, s11
	v_perm_b32 v20, v17, v4, s11
	ds_write2_b32 v5, v6, v20 offset0:12 offset1:18
.LBB0_14:
	s_or_b64 exec, exec, s[0:1]
	s_waitcnt lgkmcnt(0)
	s_barrier
	ds_read2_b32 v[5:6], v7 offset0:48 offset1:96
	ds_read_b32 v20, v9
	ds_read_b32 v21, v7 offset:576
	s_and_saveexec_b64 s[0:1], vcc
	s_cbranch_execz .LBB0_16
; %bb.15:
	ds_read2_b32 v[1:2], v7 offset0:32 offset1:80
	ds_read2_b32 v[3:4], v7 offset0:128 offset1:176
	s_waitcnt lgkmcnt(1)
	v_lshrrev_b32_e32 v16, 16, v1
	v_lshrrev_b32_e32 v19, 16, v2
	s_waitcnt lgkmcnt(0)
	v_lshrrev_b32_e32 v18, 16, v3
	v_lshrrev_b32_e32 v17, 16, v4
.LBB0_16:
	s_or_b64 exec, exec, s[0:1]
	v_subrev_u32_e32 v22, 24, v13
	v_cmp_gt_u32_e64 s[0:1], 24, v13
	v_cndmask_b32_e64 v25, v22, v13, s[0:1]
	v_mul_i32_i24_e32 v22, 3, v25
	v_mov_b32_e32 v23, 0
	v_lshlrev_b64 v[22:23], 2, v[22:23]
	v_mov_b32_e32 v24, s21
	v_add_co_u32_e64 v22, s[0:1], s20, v22
	v_addc_co_u32_e64 v23, s[0:1], v24, v23, s[0:1]
	global_load_dwordx3 v[22:24], v[22:23], off offset:72
	v_mov_b32_e32 v30, 0x60
	v_cmp_lt_u32_e64 s[0:1], 23, v13
	s_waitcnt lgkmcnt(2)
	v_lshrrev_b32_e32 v27, 16, v5
	v_lshrrev_b32_e32 v28, 16, v6
	s_waitcnt lgkmcnt(0)
	v_lshrrev_b32_e32 v29, 16, v21
	v_cndmask_b32_e64 v13, 0, v30, s[0:1]
	v_or_b32_e32 v13, v13, v25
	v_lshrrev_b32_e32 v26, 16, v20
	v_lshlrev_b32_e32 v13, 2, v13
	v_add3_u32 v13, 0, v13, v12
	s_waitcnt vmcnt(0)
	s_barrier
	v_mul_f16_sdwa v25, v22, v27 dst_sel:DWORD dst_unused:UNUSED_PAD src0_sel:WORD_1 src1_sel:DWORD
	v_mul_f16_sdwa v30, v22, v5 dst_sel:DWORD dst_unused:UNUSED_PAD src0_sel:WORD_1 src1_sel:DWORD
	v_mul_f16_sdwa v31, v23, v28 dst_sel:DWORD dst_unused:UNUSED_PAD src0_sel:WORD_1 src1_sel:DWORD
	v_mul_f16_sdwa v32, v23, v6 dst_sel:DWORD dst_unused:UNUSED_PAD src0_sel:WORD_1 src1_sel:DWORD
	v_mul_f16_sdwa v33, v24, v29 dst_sel:DWORD dst_unused:UNUSED_PAD src0_sel:WORD_1 src1_sel:DWORD
	v_mul_f16_sdwa v34, v24, v21 dst_sel:DWORD dst_unused:UNUSED_PAD src0_sel:WORD_1 src1_sel:DWORD
	v_fma_f16 v5, v22, v5, -v25
	v_fma_f16 v22, v22, v27, v30
	v_fma_f16 v6, v23, v6, -v31
	v_fma_f16 v23, v23, v28, v32
	;; [unrolled: 2-line block ×3, first 2 shown]
	v_sub_f16_e32 v6, v20, v6
	v_sub_f16_e32 v23, v26, v23
	;; [unrolled: 1-line block ×4, first 2 shown]
	v_fma_f16 v20, v20, 2.0, -v6
	v_fma_f16 v25, v26, 2.0, -v23
	;; [unrolled: 1-line block ×4, first 2 shown]
	v_sub_f16_e32 v24, v6, v24
	v_add_f16_e32 v21, v23, v21
	v_sub_f16_e32 v5, v20, v5
	v_sub_f16_e32 v22, v25, v22
	v_fma_f16 v6, v6, 2.0, -v24
	v_fma_f16 v23, v23, 2.0, -v21
	v_pack_b32_f16 v21, v24, v21
	v_fma_f16 v20, v20, 2.0, -v5
	v_fma_f16 v24, v25, 2.0, -v22
	v_pack_b32_f16 v6, v6, v23
	v_pack_b32_f16 v20, v20, v24
	;; [unrolled: 1-line block ×3, first 2 shown]
	ds_write2_b32 v13, v20, v6 offset1:24
	ds_write2_b32 v13, v5, v21 offset0:48 offset1:72
	s_and_saveexec_b64 s[0:1], vcc
	s_cbranch_execz .LBB0_18
; %bb.17:
	v_lshrrev_b16_e32 v5, 10, v15
	v_mul_lo_u16_e32 v5, 24, v5
	v_sub_u16_e32 v5, v14, v5
	v_mov_b32_e32 v6, 3
	v_mul_u32_u24_sdwa v6, v5, v6 dst_sel:DWORD dst_unused:UNUSED_PAD src0_sel:BYTE_0 src1_sel:DWORD
	v_lshlrev_b32_e32 v6, 2, v6
	global_load_dwordx3 v[13:15], v6, s[20:21] offset:72
	v_mov_b32_e32 v6, 2
	v_lshlrev_b32_sdwa v5, v6, v5 dst_sel:DWORD dst_unused:UNUSED_PAD src0_sel:DWORD src1_sel:BYTE_0
	v_add3_u32 v5, 0, v5, v12
	s_waitcnt vmcnt(0)
	v_mul_f16_sdwa v6, v18, v14 dst_sel:DWORD dst_unused:UNUSED_PAD src0_sel:DWORD src1_sel:WORD_1
	v_mul_f16_sdwa v12, v2, v13 dst_sel:DWORD dst_unused:UNUSED_PAD src0_sel:DWORD src1_sel:WORD_1
	v_mul_f16_sdwa v20, v4, v15 dst_sel:DWORD dst_unused:UNUSED_PAD src0_sel:DWORD src1_sel:WORD_1
	v_mul_f16_sdwa v21, v3, v14 dst_sel:DWORD dst_unused:UNUSED_PAD src0_sel:DWORD src1_sel:WORD_1
	v_mul_f16_sdwa v22, v19, v13 dst_sel:DWORD dst_unused:UNUSED_PAD src0_sel:DWORD src1_sel:WORD_1
	v_mul_f16_sdwa v23, v17, v15 dst_sel:DWORD dst_unused:UNUSED_PAD src0_sel:DWORD src1_sel:WORD_1
	v_fma_f16 v3, v3, v14, -v6
	v_fma_f16 v6, v19, v13, v12
	v_fma_f16 v12, v17, v15, v20
	;; [unrolled: 1-line block ×3, first 2 shown]
	v_fma_f16 v2, v2, v13, -v22
	v_fma_f16 v4, v4, v15, -v23
	v_sub_f16_e32 v3, v1, v3
	v_sub_f16_e32 v12, v6, v12
	;; [unrolled: 1-line block ×4, first 2 shown]
	v_add_f16_e32 v15, v13, v4
	v_fma_f16 v1, v1, 2.0, -v3
	v_fma_f16 v2, v2, 2.0, -v4
	;; [unrolled: 1-line block ×4, first 2 shown]
	v_sub_f16_e32 v14, v3, v12
	v_sub_f16_e32 v2, v1, v2
	;; [unrolled: 1-line block ×3, first 2 shown]
	v_fma_f16 v3, v3, 2.0, -v14
	v_fma_f16 v12, v13, 2.0, -v15
	;; [unrolled: 1-line block ×4, first 2 shown]
	v_pack_b32_f16 v3, v3, v12
	v_pack_b32_f16 v1, v1, v4
	;; [unrolled: 1-line block ×4, first 2 shown]
	ds_write2_b32 v5, v1, v3 offset0:96 offset1:120
	ds_write2_b32 v5, v2, v13 offset0:144 offset1:168
.LBB0_18:
	s_or_b64 exec, exec, s[0:1]
	s_waitcnt lgkmcnt(0)
	s_barrier
	global_load_dword v6, v11, s[20:21] offset:360
	global_load_dword v12, v11, s[20:21] offset:488
	;; [unrolled: 1-line block ×3, first 2 shown]
	ds_read2_b32 v[2:3], v7 offset0:96 offset1:128
	ds_read2_b32 v[4:5], v7 offset0:32 offset1:64
	v_lshl_add_u32 v8, v8, 2, v10
	ds_read_b32 v9, v9
	ds_read_b32 v10, v7 offset:640
	v_and_b32_e32 v1, 7, v0
	v_or_b32_e32 v11, s7, v1
	v_cmp_gt_u32_e32 vcc, s2, v11
	s_mov_b32 s0, 0xffff
	s_waitcnt vmcnt(0) lgkmcnt(0)
	s_barrier
	v_pk_mul_f16 v11, v6, v2 op_sel:[0,1]
	v_pk_mul_f16 v14, v12, v3 op_sel:[0,1]
	;; [unrolled: 1-line block ×3, first 2 shown]
	v_pk_fma_f16 v16, v6, v2, v11 op_sel:[0,0,1] op_sel_hi:[1,1,0] neg_lo:[0,0,1] neg_hi:[0,0,1]
	v_pk_fma_f16 v2, v6, v2, v11 op_sel:[0,0,1] op_sel_hi:[1,0,0]
	v_pk_fma_f16 v6, v12, v3, v14 op_sel:[0,0,1] op_sel_hi:[1,1,0] neg_lo:[0,0,1] neg_hi:[0,0,1]
	v_pk_fma_f16 v3, v12, v3, v14 op_sel:[0,0,1] op_sel_hi:[1,0,0]
	;; [unrolled: 2-line block ×3, first 2 shown]
	v_bfi_b32 v2, s0, v16, v2
	v_bfi_b32 v3, s0, v6, v3
	;; [unrolled: 1-line block ×3, first 2 shown]
	v_pk_add_f16 v2, v9, v2 neg_lo:[0,1] neg_hi:[0,1]
	v_pk_add_f16 v3, v4, v3 neg_lo:[0,1] neg_hi:[0,1]
	;; [unrolled: 1-line block ×3, first 2 shown]
	s_or_b64 s[0:1], s[18:19], vcc
	v_pk_fma_f16 v9, v9, 2.0, v2 op_sel_hi:[1,0,1] neg_lo:[0,0,1] neg_hi:[0,0,1]
	v_pk_fma_f16 v4, v4, 2.0, v3 op_sel_hi:[1,0,1] neg_lo:[0,0,1] neg_hi:[0,0,1]
	;; [unrolled: 1-line block ×3, first 2 shown]
	ds_write2_b32 v8, v3, v6 offset0:128 offset1:160
	ds_write2_b32 v7, v9, v4 offset1:32
	ds_write2_b32 v7, v5, v2 offset0:64 offset1:96
	s_waitcnt lgkmcnt(0)
	s_barrier
	s_and_saveexec_b64 s[12:13], s[0:1]
	s_cbranch_execz .LBB0_20
; %bb.19:
	s_load_dwordx2 s[0:1], s[4:5], 0x60
	s_mul_i32 s4, s6, s16
	v_mad_u64_u32 v[2:3], s[16:17], s8, v1, 0
	s_mul_i32 s2, s9, s7
	s_mul_hi_u32 s6, s8, s7
	s_add_i32 s13, s6, s2
	s_mul_i32 s12, s8, s7
	s_mul_i32 s2, s15, s3
	s_mul_hi_u32 s8, s14, s3
	v_mad_u64_u32 v[3:4], s[6:7], s9, v1, v[3:4]
	s_add_i32 s7, s8, s2
	s_mul_i32 s6, s14, s3
	s_lshl_b64 s[2:3], s[12:13], 2
	s_mov_b32 s5, 0
	s_waitcnt lgkmcnt(0)
	s_add_u32 s2, s0, s2
	s_addc_u32 s3, s1, s3
	s_lshl_b64 s[0:1], s[4:5], 2
	v_lshrrev_b32_e32 v0, 3, v0
	s_add_u32 s2, s2, s0
	v_mul_lo_u32 v4, v0, s10
	s_addc_u32 s3, s3, s1
	s_lshl_b64 s[0:1], s[6:7], 2
	v_mul_u32_u24_e32 v1, 0x300, v1
	v_lshlrev_b32_e32 v0, 2, v0
	s_add_u32 s0, s2, s0
	v_lshlrev_b64 v[2:3], 2, v[2:3]
	v_add3_u32 v6, 0, v1, v0
	s_addc_u32 s1, s3, s1
	v_mov_b32_e32 v5, 0
	ds_read2_b32 v[0:1], v6 offset1:32
	v_mov_b32_e32 v7, s1
	v_add_co_u32_e32 v8, vcc, s0, v2
	v_addc_co_u32_e32 v7, vcc, v7, v3, vcc
	v_lshlrev_b64 v[2:3], 2, v[4:5]
	s_lshl_b32 s0, s10, 5
	v_add_co_u32_e32 v2, vcc, v8, v2
	v_addc_co_u32_e32 v3, vcc, v7, v3, vcc
	v_add_u32_e32 v4, s0, v4
	s_waitcnt lgkmcnt(0)
	global_store_dword v[2:3], v0, off
	v_lshlrev_b64 v[2:3], 2, v[4:5]
	v_add_u32_e32 v4, s0, v4
	v_add_co_u32_e32 v2, vcc, v8, v2
	v_addc_co_u32_e32 v3, vcc, v7, v3, vcc
	global_store_dword v[2:3], v1, off
	ds_read2_b32 v[0:1], v6 offset0:64 offset1:96
	v_lshlrev_b64 v[2:3], 2, v[4:5]
	v_add_u32_e32 v4, s0, v4
	v_add_co_u32_e32 v2, vcc, v8, v2
	v_addc_co_u32_e32 v3, vcc, v7, v3, vcc
	s_waitcnt lgkmcnt(0)
	global_store_dword v[2:3], v0, off
	v_lshlrev_b64 v[2:3], 2, v[4:5]
	v_add_u32_e32 v4, s0, v4
	v_add_co_u32_e32 v2, vcc, v8, v2
	v_addc_co_u32_e32 v3, vcc, v7, v3, vcc
	global_store_dword v[2:3], v1, off
	ds_read2_b32 v[0:1], v6 offset0:128 offset1:160
	v_lshlrev_b64 v[2:3], 2, v[4:5]
	v_add_u32_e32 v4, s0, v4
	v_add_co_u32_e32 v2, vcc, v8, v2
	v_addc_co_u32_e32 v3, vcc, v7, v3, vcc
	s_waitcnt lgkmcnt(0)
	global_store_dword v[2:3], v0, off
	v_lshlrev_b64 v[2:3], 2, v[4:5]
	v_add_co_u32_e32 v2, vcc, v8, v2
	v_addc_co_u32_e32 v3, vcc, v7, v3, vcc
	global_store_dword v[2:3], v1, off
.LBB0_20:
	s_endpgm
	.section	.rodata,"a",@progbits
	.p2align	6, 0x0
	.amdhsa_kernel fft_rtc_fwd_len192_factors_6_4_4_2_wgs_256_tpt_32_half_op_CI_CI_sbrc_xy_z_unaligned
		.amdhsa_group_segment_fixed_size 0
		.amdhsa_private_segment_fixed_size 0
		.amdhsa_kernarg_size 104
		.amdhsa_user_sgpr_count 6
		.amdhsa_user_sgpr_private_segment_buffer 1
		.amdhsa_user_sgpr_dispatch_ptr 0
		.amdhsa_user_sgpr_queue_ptr 0
		.amdhsa_user_sgpr_kernarg_segment_ptr 1
		.amdhsa_user_sgpr_dispatch_id 0
		.amdhsa_user_sgpr_flat_scratch_init 0
		.amdhsa_user_sgpr_private_segment_size 0
		.amdhsa_uses_dynamic_stack 0
		.amdhsa_system_sgpr_private_segment_wavefront_offset 0
		.amdhsa_system_sgpr_workgroup_id_x 1
		.amdhsa_system_sgpr_workgroup_id_y 0
		.amdhsa_system_sgpr_workgroup_id_z 0
		.amdhsa_system_sgpr_workgroup_info 0
		.amdhsa_system_vgpr_workitem_id 0
		.amdhsa_next_free_vgpr 38
		.amdhsa_next_free_sgpr 28
		.amdhsa_reserve_vcc 1
		.amdhsa_reserve_flat_scratch 0
		.amdhsa_float_round_mode_32 0
		.amdhsa_float_round_mode_16_64 0
		.amdhsa_float_denorm_mode_32 3
		.amdhsa_float_denorm_mode_16_64 3
		.amdhsa_dx10_clamp 1
		.amdhsa_ieee_mode 1
		.amdhsa_fp16_overflow 0
		.amdhsa_exception_fp_ieee_invalid_op 0
		.amdhsa_exception_fp_denorm_src 0
		.amdhsa_exception_fp_ieee_div_zero 0
		.amdhsa_exception_fp_ieee_overflow 0
		.amdhsa_exception_fp_ieee_underflow 0
		.amdhsa_exception_fp_ieee_inexact 0
		.amdhsa_exception_int_div_zero 0
	.end_amdhsa_kernel
	.text
.Lfunc_end0:
	.size	fft_rtc_fwd_len192_factors_6_4_4_2_wgs_256_tpt_32_half_op_CI_CI_sbrc_xy_z_unaligned, .Lfunc_end0-fft_rtc_fwd_len192_factors_6_4_4_2_wgs_256_tpt_32_half_op_CI_CI_sbrc_xy_z_unaligned
                                        ; -- End function
	.section	.AMDGPU.csdata,"",@progbits
; Kernel info:
; codeLenInByte = 4000
; NumSgprs: 32
; NumVgprs: 38
; ScratchSize: 0
; MemoryBound: 0
; FloatMode: 240
; IeeeMode: 1
; LDSByteSize: 0 bytes/workgroup (compile time only)
; SGPRBlocks: 3
; VGPRBlocks: 9
; NumSGPRsForWavesPerEU: 32
; NumVGPRsForWavesPerEU: 38
; Occupancy: 6
; WaveLimiterHint : 1
; COMPUTE_PGM_RSRC2:SCRATCH_EN: 0
; COMPUTE_PGM_RSRC2:USER_SGPR: 6
; COMPUTE_PGM_RSRC2:TRAP_HANDLER: 0
; COMPUTE_PGM_RSRC2:TGID_X_EN: 1
; COMPUTE_PGM_RSRC2:TGID_Y_EN: 0
; COMPUTE_PGM_RSRC2:TGID_Z_EN: 0
; COMPUTE_PGM_RSRC2:TIDIG_COMP_CNT: 0
	.type	__hip_cuid_8999370ffddf25f9,@object ; @__hip_cuid_8999370ffddf25f9
	.section	.bss,"aw",@nobits
	.globl	__hip_cuid_8999370ffddf25f9
__hip_cuid_8999370ffddf25f9:
	.byte	0                               ; 0x0
	.size	__hip_cuid_8999370ffddf25f9, 1

	.ident	"AMD clang version 19.0.0git (https://github.com/RadeonOpenCompute/llvm-project roc-6.4.0 25133 c7fe45cf4b819c5991fe208aaa96edf142730f1d)"
	.section	".note.GNU-stack","",@progbits
	.addrsig
	.addrsig_sym __hip_cuid_8999370ffddf25f9
	.amdgpu_metadata
---
amdhsa.kernels:
  - .args:
      - .actual_access:  read_only
        .address_space:  global
        .offset:         0
        .size:           8
        .value_kind:     global_buffer
      - .offset:         8
        .size:           8
        .value_kind:     by_value
      - .actual_access:  read_only
        .address_space:  global
        .offset:         16
        .size:           8
        .value_kind:     global_buffer
      - .actual_access:  read_only
        .address_space:  global
        .offset:         24
        .size:           8
        .value_kind:     global_buffer
      - .actual_access:  read_only
        .address_space:  global
        .offset:         32
        .size:           8
        .value_kind:     global_buffer
      - .offset:         40
        .size:           8
        .value_kind:     by_value
      - .actual_access:  read_only
        .address_space:  global
        .offset:         48
        .size:           8
        .value_kind:     global_buffer
      - .actual_access:  read_only
        .address_space:  global
        .offset:         56
        .size:           8
        .value_kind:     global_buffer
      - .offset:         64
        .size:           4
        .value_kind:     by_value
      - .actual_access:  read_only
        .address_space:  global
        .offset:         72
        .size:           8
        .value_kind:     global_buffer
      - .actual_access:  read_only
        .address_space:  global
        .offset:         80
        .size:           8
        .value_kind:     global_buffer
      - .actual_access:  read_only
        .address_space:  global
        .offset:         88
        .size:           8
        .value_kind:     global_buffer
      - .actual_access:  write_only
        .address_space:  global
        .offset:         96
        .size:           8
        .value_kind:     global_buffer
    .group_segment_fixed_size: 0
    .kernarg_segment_align: 8
    .kernarg_segment_size: 104
    .language:       OpenCL C
    .language_version:
      - 2
      - 0
    .max_flat_workgroup_size: 256
    .name:           fft_rtc_fwd_len192_factors_6_4_4_2_wgs_256_tpt_32_half_op_CI_CI_sbrc_xy_z_unaligned
    .private_segment_fixed_size: 0
    .sgpr_count:     32
    .sgpr_spill_count: 0
    .symbol:         fft_rtc_fwd_len192_factors_6_4_4_2_wgs_256_tpt_32_half_op_CI_CI_sbrc_xy_z_unaligned.kd
    .uniform_work_group_size: 1
    .uses_dynamic_stack: false
    .vgpr_count:     38
    .vgpr_spill_count: 0
    .wavefront_size: 64
amdhsa.target:   amdgcn-amd-amdhsa--gfx906
amdhsa.version:
  - 1
  - 2
...

	.end_amdgpu_metadata
